;; amdgpu-corpus repo=ROCm/rocFFT kind=compiled arch=gfx906 opt=O3
	.text
	.amdgcn_target "amdgcn-amd-amdhsa--gfx906"
	.amdhsa_code_object_version 6
	.protected	bluestein_single_back_len240_dim1_sp_op_CI_CI ; -- Begin function bluestein_single_back_len240_dim1_sp_op_CI_CI
	.globl	bluestein_single_back_len240_dim1_sp_op_CI_CI
	.p2align	8
	.type	bluestein_single_back_len240_dim1_sp_op_CI_CI,@function
bluestein_single_back_len240_dim1_sp_op_CI_CI: ; @bluestein_single_back_len240_dim1_sp_op_CI_CI
; %bb.0:
	s_load_dwordx4 s[0:3], s[4:5], 0x28
	v_mul_u32_u24_e32 v1, 0x556, v0
	v_lshrrev_b32_e32 v1, 16, v1
	v_lshl_add_u32 v34, s6, 1, v1
	v_mov_b32_e32 v35, 0
	s_waitcnt lgkmcnt(0)
	v_cmp_gt_u64_e32 vcc, s[0:1], v[34:35]
	s_and_saveexec_b64 s[0:1], vcc
	s_cbranch_execz .LBB0_23
; %bb.1:
	s_load_dwordx2 s[10:11], s[4:5], 0x0
	s_load_dwordx2 s[8:9], s[4:5], 0x38
	v_mul_lo_u16_e32 v2, 48, v1
	v_sub_u16_e32 v37, v0, v2
	v_and_b32_e32 v0, 1, v1
	v_mov_b32_e32 v1, 0xf0
	v_cmp_eq_u32_e32 vcc, 1, v0
	v_cndmask_b32_e32 v40, 0, v1, vcc
	v_cmp_gt_u16_e32 vcc, 30, v37
	v_lshlrev_b32_e32 v38, 3, v37
	v_lshlrev_b32_e32 v39, 3, v40
	s_and_saveexec_b64 s[6:7], vcc
	s_cbranch_execz .LBB0_3
; %bb.2:
	s_load_dwordx2 s[0:1], s[4:5], 0x18
	v_lshl_add_u32 v35, v37, 3, v39
	v_add_u32_e32 v36, v39, v38
	s_waitcnt lgkmcnt(0)
	s_load_dwordx4 s[12:15], s[0:1], 0x0
	s_waitcnt lgkmcnt(0)
	v_mad_u64_u32 v[0:1], s[0:1], s14, v34, 0
	v_mad_u64_u32 v[2:3], s[0:1], s12, v37, 0
	;; [unrolled: 1-line block ×4, first 2 shown]
	v_mov_b32_e32 v1, v4
	v_lshlrev_b64 v[0:1], 3, v[0:1]
	v_mov_b32_e32 v3, v5
	v_mov_b32_e32 v6, s3
	v_lshlrev_b64 v[2:3], 3, v[2:3]
	v_add_co_u32_e64 v0, s[0:1], s2, v0
	v_addc_co_u32_e64 v1, s[0:1], v6, v1, s[0:1]
	v_add_co_u32_e64 v0, s[0:1], v0, v2
	v_addc_co_u32_e64 v1, s[0:1], v1, v3, s[0:1]
	s_mul_i32 s0, s13, 0xf0
	s_mul_hi_u32 s1, s12, 0xf0
	s_add_i32 s2, s1, s0
	s_mul_i32 s3, s12, 0xf0
	global_load_dwordx2 v[2:3], v[0:1], off
	v_mov_b32_e32 v4, s2
	v_add_co_u32_e64 v0, s[0:1], s3, v0
	v_addc_co_u32_e64 v1, s[0:1], v1, v4, s[0:1]
	v_mov_b32_e32 v5, s2
	v_add_co_u32_e64 v4, s[0:1], s3, v0
	v_addc_co_u32_e64 v5, s[0:1], v1, v5, s[0:1]
	;; [unrolled: 3-line block ×3, first 2 shown]
	global_load_dwordx2 v[6:7], v38, s[10:11]
	global_load_dwordx2 v[8:9], v38, s[10:11] offset:240
	global_load_dwordx2 v[10:11], v38, s[10:11] offset:480
	;; [unrolled: 1-line block ×3, first 2 shown]
	global_load_dwordx2 v[16:17], v[0:1], off
	global_load_dwordx2 v[18:19], v[4:5], off
	;; [unrolled: 1-line block ×3, first 2 shown]
	global_load_dwordx2 v[22:23], v38, s[10:11] offset:960
	global_load_dwordx2 v[24:25], v38, s[10:11] offset:1200
	v_mov_b32_e32 v1, s2
	v_add_co_u32_e64 v0, s[0:1], s3, v14
	v_addc_co_u32_e64 v1, s[0:1], v15, v1, s[0:1]
	v_mov_b32_e32 v26, s2
	global_load_dwordx2 v[4:5], v[0:1], off
	v_add_co_u32_e64 v0, s[0:1], s3, v0
	v_addc_co_u32_e64 v1, s[0:1], v1, v26, s[0:1]
	v_mov_b32_e32 v27, s2
	global_load_dwordx2 v[14:15], v[0:1], off
	v_add_co_u32_e64 v0, s[0:1], s3, v0
	v_addc_co_u32_e64 v1, s[0:1], v1, v27, s[0:1]
	global_load_dwordx2 v[26:27], v[0:1], off
	global_load_dwordx2 v[28:29], v38, s[10:11] offset:1440
	v_mov_b32_e32 v30, s2
	v_add_co_u32_e64 v0, s[0:1], s3, v0
	v_addc_co_u32_e64 v1, s[0:1], v1, v30, s[0:1]
	global_load_dwordx2 v[30:31], v38, s[10:11] offset:1680
	global_load_dwordx2 v[32:33], v[0:1], off
	s_waitcnt vmcnt(14)
	v_mul_f32_e32 v0, v3, v7
	v_mul_f32_e32 v1, v2, v7
	v_fmac_f32_e32 v0, v2, v6
	v_fma_f32 v1, v3, v6, -v1
	s_waitcnt vmcnt(10)
	v_mul_f32_e32 v3, v16, v9
	v_mul_f32_e32 v2, v17, v9
	s_waitcnt vmcnt(9)
	v_mul_f32_e32 v7, v18, v11
	v_mul_f32_e32 v6, v19, v11
	v_fma_f32 v3, v17, v8, -v3
	v_fmac_f32_e32 v2, v16, v8
	v_fma_f32 v7, v19, v10, -v7
	v_fmac_f32_e32 v6, v18, v10
	ds_write_b64 v35, v[0:1]
	s_waitcnt vmcnt(8)
	v_mul_f32_e32 v1, v20, v13
	v_mul_f32_e32 v0, v21, v13
	ds_write2_b64 v36, v[2:3], v[6:7] offset0:30 offset1:60
	s_waitcnt vmcnt(5)
	v_mul_f32_e32 v2, v5, v23
	v_mul_f32_e32 v3, v4, v23
	v_fma_f32 v1, v21, v12, -v1
	v_fmac_f32_e32 v0, v20, v12
	v_fmac_f32_e32 v2, v4, v22
	v_fma_f32 v3, v5, v22, -v3
	s_waitcnt vmcnt(4)
	v_mul_f32_e32 v4, v15, v25
	v_mul_f32_e32 v5, v14, v25
	ds_write2_b64 v36, v[0:1], v[2:3] offset0:90 offset1:120
	s_waitcnt vmcnt(2)
	v_mul_f32_e32 v0, v27, v29
	v_mul_f32_e32 v1, v26, v29
	v_fmac_f32_e32 v4, v14, v24
	v_fma_f32 v5, v15, v24, -v5
	v_fmac_f32_e32 v0, v26, v28
	v_fma_f32 v1, v27, v28, -v1
	ds_write2_b64 v36, v[4:5], v[0:1] offset0:150 offset1:180
	s_waitcnt vmcnt(0)
	v_mul_f32_e32 v0, v33, v31
	v_mul_f32_e32 v1, v32, v31
	v_fmac_f32_e32 v0, v32, v30
	v_fma_f32 v1, v33, v30, -v1
	ds_write_b64 v36, v[0:1] offset:1680
.LBB0_3:
	s_or_b64 exec, exec, s[6:7]
	s_load_dwordx2 s[0:1], s[4:5], 0x20
	s_load_dwordx2 s[2:3], s[4:5], 0x8
	s_waitcnt lgkmcnt(0)
	s_barrier
	s_waitcnt lgkmcnt(0)
                                        ; implicit-def: $vgpr10
                                        ; implicit-def: $vgpr14
                                        ; implicit-def: $vgpr2
                                        ; implicit-def: $vgpr6
	s_and_saveexec_b64 s[4:5], vcc
	s_cbranch_execz .LBB0_5
; %bb.4:
	v_lshl_add_u32 v8, v40, 3, v38
	ds_read2_b64 v[4:7], v8 offset1:30
	ds_read2_b64 v[0:3], v8 offset0:60 offset1:90
	ds_read2_b64 v[12:15], v8 offset0:120 offset1:150
	ds_read2_b64 v[8:11], v8 offset0:180 offset1:210
.LBB0_5:
	s_or_b64 exec, exec, s[4:5]
	s_waitcnt lgkmcnt(1)
	v_sub_f32_e32 v12, v4, v12
	s_waitcnt lgkmcnt(0)
	v_sub_f32_e32 v8, v0, v8
	v_sub_f32_e32 v16, v5, v13
	v_fma_f32 v4, v4, 2.0, -v12
	v_sub_f32_e32 v9, v1, v9
	v_fma_f32 v13, v0, 2.0, -v8
	v_sub_f32_e32 v18, v6, v14
	v_sub_f32_e32 v10, v2, v10
	v_fma_f32 v5, v5, 2.0, -v16
	v_fma_f32 v17, v1, 2.0, -v9
	v_sub_f32_e32 v19, v7, v15
	v_fma_f32 v0, v6, 2.0, -v18
	v_sub_f32_e32 v11, v3, v11
	;; [unrolled: 2-line block ×3, first 2 shown]
	v_sub_f32_e32 v13, v12, v9
	v_add_f32_e32 v15, v8, v16
	v_fma_f32 v1, v7, 2.0, -v19
	v_fma_f32 v20, v3, 2.0, -v11
	v_sub_f32_e32 v3, v5, v17
	v_fma_f32 v7, v12, 2.0, -v13
	v_fma_f32 v14, v16, 2.0, -v15
	v_sub_f32_e32 v16, v18, v11
	v_add_f32_e32 v17, v10, v19
	v_fma_f32 v8, v18, 2.0, -v16
	v_fma_f32 v9, v19, 2.0, -v17
	v_mov_b32_e32 v22, v7
	v_mov_b32_e32 v23, v14
	;; [unrolled: 1-line block ×4, first 2 shown]
	v_sub_f32_e32 v6, v0, v6
	v_sub_f32_e32 v12, v1, v20
	v_fmac_f32_e32 v22, 0xbf3504f3, v8
	v_fmac_f32_e32 v23, 0xbf3504f3, v9
	;; [unrolled: 1-line block ×6, first 2 shown]
	v_sub_f32_e32 v8, v2, v12
	v_add_f32_e32 v9, v6, v3
	v_fmac_f32_e32 v10, 0xbf3504f3, v17
	v_fmac_f32_e32 v11, 0x3f3504f3, v16
	v_lshlrev_b16_e32 v42, 3, v37
	s_barrier
	s_and_saveexec_b64 s[4:5], vcc
	s_cbranch_execz .LBB0_7
; %bb.6:
	v_fma_f32 v16, v3, 2.0, -v9
	v_fma_f32 v3, v5, 2.0, -v3
	;; [unrolled: 1-line block ×3, first 2 shown]
	v_sub_f32_e32 v21, v3, v1
	v_fma_f32 v1, v4, 2.0, -v2
	v_fma_f32 v0, v0, 2.0, -v6
	v_sub_f32_e32 v20, v1, v0
	v_fma_f32 v27, v14, 2.0, -v23
	v_fma_f32 v26, v7, 2.0, -v22
	;; [unrolled: 1-line block ×4, first 2 shown]
	v_add_lshl_u32 v0, v40, v42, 3
	v_fma_f32 v18, v15, 2.0, -v11
	v_fma_f32 v17, v13, 2.0, -v10
	;; [unrolled: 1-line block ×3, first 2 shown]
	ds_write_b128 v0, v[24:27]
	ds_write_b128 v0, v[15:18] offset:16
	ds_write_b128 v0, v[20:23] offset:32
	;; [unrolled: 1-line block ×3, first 2 shown]
.LBB0_7:
	s_or_b64 exec, exec, s[4:5]
	v_and_b32_e32 v28, 7, v37
	v_lshlrev_b32_e32 v12, 5, v28
	s_load_dwordx4 s[4:7], s[0:1], 0x0
	s_waitcnt lgkmcnt(0)
	s_barrier
	global_load_dwordx4 v[4:7], v12, s[2:3]
	global_load_dwordx4 v[0:3], v12, s[2:3] offset:16
	v_add_lshl_u32 v41, v40, v37, 3
	ds_read2_b64 v[12:15], v41 offset0:96 offset1:144
	ds_read_b64 v[20:21], v41 offset:1536
	ds_read2_b64 v[16:19], v41 offset1:48
	v_cmp_gt_u16_e64 s[0:1], 40, v37
	s_waitcnt vmcnt(0) lgkmcnt(0)
	s_barrier
	v_mul_f32_e32 v30, v19, v5
	v_mul_f32_e32 v29, v14, v1
	;; [unrolled: 1-line block ×8, first 2 shown]
	v_fmac_f32_e32 v29, v15, v0
	v_fma_f32 v15, v18, v4, -v30
	v_fma_f32 v12, v12, v6, -v24
	v_fmac_f32_e32 v25, v13, v6
	v_fma_f32 v13, v14, v0, -v26
	v_fma_f32 v14, v20, v2, -v27
	v_fmac_f32_e32 v31, v21, v2
	v_fmac_f32_e32 v32, v19, v4
	v_add_f32_e32 v30, v16, v15
	v_add_f32_e32 v18, v12, v13
	;; [unrolled: 1-line block ×5, first 2 shown]
	v_sub_f32_e32 v35, v15, v12
	v_sub_f32_e32 v36, v12, v15
	;; [unrolled: 1-line block ×3, first 2 shown]
	v_add_f32_e32 v12, v30, v12
	v_add_f32_e32 v33, v17, v32
	v_sub_f32_e32 v44, v14, v13
	v_sub_f32_e32 v46, v32, v31
	;; [unrolled: 1-line block ×5, first 2 shown]
	v_fma_f32 v20, -0.5, v18, v16
	v_fma_f32 v21, -0.5, v19, v17
	;; [unrolled: 1-line block ×4, first 2 shown]
	v_add_f32_e32 v12, v12, v13
	v_sub_f32_e32 v15, v15, v14
	v_sub_f32_e32 v48, v25, v29
	v_add_f32_e32 v16, v33, v25
	v_add_f32_e32 v17, v35, v44
	;; [unrolled: 1-line block ×3, first 2 shown]
	v_mov_b32_e32 v32, v20
	v_mov_b32_e32 v24, v26
	;; [unrolled: 1-line block ×4, first 2 shown]
	v_add_f32_e32 v30, v12, v14
	v_lshrrev_b32_e32 v12, 3, v37
	v_sub_f32_e32 v45, v13, v14
	v_sub_f32_e32 v49, v31, v29
	v_fmac_f32_e32 v20, 0xbf737871, v46
	v_fmac_f32_e32 v26, 0x3f737871, v48
	;; [unrolled: 1-line block ×8, first 2 shown]
	v_mul_u32_u24_e32 v12, 40, v12
	v_add_f32_e32 v18, v36, v45
	v_add_f32_e32 v19, v47, v49
	;; [unrolled: 1-line block ×3, first 2 shown]
	v_fmac_f32_e32 v20, 0xbf167918, v48
	v_fmac_f32_e32 v26, 0xbf167918, v46
	;; [unrolled: 1-line block ×8, first 2 shown]
	v_or_b32_e32 v12, v12, v28
	v_add_f32_e32 v31, v13, v31
	v_fmac_f32_e32 v20, 0x3e9e377a, v17
	v_fmac_f32_e32 v26, 0x3e9e377a, v18
	;; [unrolled: 1-line block ×8, first 2 shown]
	v_add_lshl_u32 v43, v40, v12, 3
	ds_write2_b64 v43, v[30:31], v[32:33] offset1:8
	ds_write2_b64 v43, v[24:25], v[26:27] offset0:16 offset1:24
	ds_write_b64 v43, v[20:21] offset:256
	s_waitcnt lgkmcnt(0)
	s_barrier
	s_and_saveexec_b64 s[12:13], s[0:1]
	s_cbranch_execz .LBB0_9
; %bb.8:
	ds_read2_b64 v[30:33], v41 offset1:40
	ds_read2_b64 v[24:27], v41 offset0:80 offset1:120
	ds_read2_b64 v[20:23], v41 offset0:160 offset1:200
.LBB0_9:
	s_or_b64 exec, exec, s[12:13]
	v_subrev_u32_e32 v12, 40, v37
	v_cndmask_b32_e64 v12, v12, v37, s[0:1]
	v_mul_hi_i32_i24_e32 v13, 40, v12
	v_mul_i32_i24_e32 v12, 40, v12
	v_mov_b32_e32 v14, s3
	v_add_co_u32_e64 v28, s[2:3], s2, v12
	v_addc_co_u32_e64 v29, s[2:3], v14, v13, s[2:3]
	global_load_dwordx4 v[12:15], v[28:29], off offset:256
	global_load_dwordx4 v[16:19], v[28:29], off offset:272
	global_load_dwordx2 v[35:36], v[28:29], off offset:288
	s_waitcnt vmcnt(2) lgkmcnt(2)
	v_mul_f32_e32 v29, v32, v13
	s_waitcnt lgkmcnt(1)
	v_mul_f32_e32 v45, v24, v15
	s_waitcnt vmcnt(1)
	v_mul_f32_e32 v46, v27, v17
	v_mul_f32_e32 v47, v26, v17
	s_waitcnt lgkmcnt(0)
	v_mul_f32_e32 v49, v20, v19
	s_waitcnt vmcnt(0)
	v_mul_f32_e32 v50, v23, v36
	v_mul_f32_e32 v51, v22, v36
	;; [unrolled: 1-line block ×5, first 2 shown]
	v_fmac_f32_e32 v29, v33, v12
	v_fmac_f32_e32 v45, v25, v14
	v_fma_f32 v25, v26, v16, -v46
	v_fmac_f32_e32 v47, v27, v16
	v_fmac_f32_e32 v49, v21, v18
	v_fma_f32 v21, v22, v35, -v50
	v_fmac_f32_e32 v51, v23, v35
	v_fma_f32 v28, v32, v12, -v28
	v_fma_f32 v24, v24, v14, -v44
	;; [unrolled: 1-line block ×3, first 2 shown]
	v_sub_f32_e32 v32, v45, v49
	v_add_f32_e32 v26, v31, v45
	v_add_f32_e32 v27, v45, v49
	;; [unrolled: 1-line block ×3, first 2 shown]
	v_sub_f32_e32 v45, v47, v51
	v_add_f32_e32 v46, v29, v47
	v_add_f32_e32 v47, v47, v51
	v_add_f32_e32 v22, v30, v24
	v_add_f32_e32 v23, v24, v20
	v_add_f32_e32 v33, v28, v25
	v_fmac_f32_e32 v28, -0.5, v44
	v_fmac_f32_e32 v29, -0.5, v47
	v_sub_f32_e32 v25, v25, v21
	v_add_f32_e32 v22, v22, v20
	v_fmac_f32_e32 v30, -0.5, v23
	v_add_f32_e32 v23, v26, v49
	v_fmac_f32_e32 v31, -0.5, v27
	v_add_f32_e32 v26, v33, v21
	v_add_f32_e32 v27, v46, v51
	v_mov_b32_e32 v46, v28
	v_fmac_f32_e32 v28, 0xbf5db3d7, v45
	v_mov_b32_e32 v47, v29
	v_sub_f32_e32 v24, v24, v20
	v_mov_b32_e32 v33, v30
	v_fmac_f32_e32 v29, 0x3f5db3d7, v25
	v_add_f32_e32 v20, v22, v26
	v_sub_f32_e32 v26, v22, v26
	v_fmac_f32_e32 v46, 0x3f5db3d7, v45
	v_fmac_f32_e32 v47, 0xbf5db3d7, v25
	v_mul_f32_e32 v22, -0.5, v28
	v_fmac_f32_e32 v30, 0xbf5db3d7, v32
	v_mov_b32_e32 v44, v31
	v_fmac_f32_e32 v33, 0x3f5db3d7, v32
	v_mul_f32_e32 v32, -0.5, v29
	v_mul_f32_e32 v45, 0x3f5db3d7, v47
	v_fmac_f32_e32 v22, 0x3f5db3d7, v29
	v_mul_f32_e32 v29, 0xbf5db3d7, v46
	v_fmac_f32_e32 v31, 0x3f5db3d7, v24
	v_fmac_f32_e32 v44, 0xbf5db3d7, v24
	;; [unrolled: 1-line block ×3, first 2 shown]
	v_fmac_f32_e32 v45, 0.5, v46
	v_fmac_f32_e32 v29, 0.5, v47
	v_add_f32_e32 v21, v23, v27
	v_sub_f32_e32 v27, v23, v27
	v_add_f32_e32 v24, v30, v22
	v_add_f32_e32 v25, v31, v32
	v_sub_f32_e32 v30, v30, v22
	v_add_f32_e32 v22, v33, v45
	v_add_f32_e32 v23, v44, v29
	v_sub_f32_e32 v28, v33, v45
	v_sub_f32_e32 v29, v44, v29
	;; [unrolled: 1-line block ×3, first 2 shown]
	s_and_saveexec_b64 s[2:3], s[0:1]
	s_cbranch_execz .LBB0_11
; %bb.10:
	v_lshl_add_u32 v32, v40, 3, v38
	ds_write2_b64 v32, v[20:21], v[22:23] offset1:40
	ds_write2_b64 v32, v[24:25], v[26:27] offset0:80 offset1:120
	ds_write2_b64 v32, v[28:29], v[30:31] offset0:160 offset1:200
.LBB0_11:
	s_or_b64 exec, exec, s[2:3]
	s_waitcnt lgkmcnt(0)
	s_barrier
	s_and_saveexec_b64 s[2:3], vcc
	s_cbranch_execz .LBB0_13
; %bb.12:
	global_load_dwordx2 v[44:45], v38, s[10:11] offset:1920
	v_lshl_add_u32 v48, v37, 3, v39
	ds_read_b64 v[32:33], v48
	s_add_u32 s12, s10, 0x780
	s_addc_u32 s13, s11, 0
	v_add_u32_e32 v50, v39, v38
	s_waitcnt vmcnt(0) lgkmcnt(0)
	v_mul_f32_e32 v46, v33, v45
	v_mul_f32_e32 v47, v32, v45
	v_fma_f32 v46, v32, v44, -v46
	v_fmac_f32_e32 v47, v33, v44
	global_load_dwordx2 v[32:33], v38, s[12:13] offset:240
	ds_write_b64 v48, v[46:47]
	ds_read2_b64 v[44:47], v50 offset0:30 offset1:60
	s_waitcnt vmcnt(0) lgkmcnt(0)
	v_mul_f32_e32 v48, v45, v33
	v_mul_f32_e32 v49, v44, v33
	v_fma_f32 v48, v44, v32, -v48
	v_fmac_f32_e32 v49, v45, v32
	global_load_dwordx2 v[32:33], v38, s[12:13] offset:480
	s_waitcnt vmcnt(0)
	v_mul_f32_e32 v44, v47, v33
	v_mul_f32_e32 v45, v46, v33
	v_fma_f32 v44, v46, v32, -v44
	v_fmac_f32_e32 v45, v47, v32
	global_load_dwordx2 v[32:33], v38, s[12:13] offset:720
	ds_write2_b64 v50, v[48:49], v[44:45] offset0:30 offset1:60
	ds_read2_b64 v[44:47], v50 offset0:90 offset1:120
	s_waitcnt vmcnt(0) lgkmcnt(0)
	v_mul_f32_e32 v48, v45, v33
	v_mul_f32_e32 v49, v44, v33
	v_fma_f32 v48, v44, v32, -v48
	v_fmac_f32_e32 v49, v45, v32
	global_load_dwordx2 v[32:33], v38, s[12:13] offset:960
	s_waitcnt vmcnt(0)
	v_mul_f32_e32 v44, v47, v33
	v_mul_f32_e32 v45, v46, v33
	v_fma_f32 v44, v46, v32, -v44
	v_fmac_f32_e32 v45, v47, v32
	global_load_dwordx2 v[32:33], v38, s[12:13] offset:1200
	ds_write2_b64 v50, v[48:49], v[44:45] offset0:90 offset1:120
	ds_read2_b64 v[44:47], v50 offset0:150 offset1:180
	s_waitcnt vmcnt(0) lgkmcnt(0)
	v_mul_f32_e32 v48, v45, v33
	v_mul_f32_e32 v49, v44, v33
	v_fma_f32 v48, v44, v32, -v48
	v_fmac_f32_e32 v49, v45, v32
	global_load_dwordx2 v[32:33], v38, s[12:13] offset:1440
	s_waitcnt vmcnt(0)
	v_mul_f32_e32 v44, v47, v33
	v_mul_f32_e32 v45, v46, v33
	v_fma_f32 v44, v46, v32, -v44
	v_fmac_f32_e32 v45, v47, v32
	ds_write2_b64 v50, v[48:49], v[44:45] offset0:150 offset1:180
	global_load_dwordx2 v[44:45], v38, s[12:13] offset:1680
	ds_read_b64 v[32:33], v50 offset:1680
	s_waitcnt vmcnt(0) lgkmcnt(0)
	v_mul_f32_e32 v46, v33, v45
	v_mul_f32_e32 v47, v32, v45
	v_fma_f32 v46, v32, v44, -v46
	v_fmac_f32_e32 v47, v33, v44
	ds_write_b64 v50, v[46:47] offset:1680
.LBB0_13:
	s_or_b64 exec, exec, s[2:3]
	s_waitcnt lgkmcnt(0)
	s_barrier
	s_and_saveexec_b64 s[2:3], vcc
	s_cbranch_execz .LBB0_15
; %bb.14:
	v_lshl_add_u32 v8, v40, 3, v38
	ds_read2_b64 v[20:23], v8 offset1:30
	ds_read2_b64 v[24:27], v8 offset0:60 offset1:90
	ds_read2_b64 v[28:31], v8 offset0:120 offset1:150
	ds_read2_b64 v[8:11], v8 offset0:180 offset1:210
.LBB0_15:
	s_or_b64 exec, exec, s[2:3]
	s_waitcnt lgkmcnt(1)
	v_sub_f32_e32 v28, v20, v28
	v_sub_f32_e32 v32, v21, v29
	s_waitcnt lgkmcnt(0)
	v_sub_f32_e32 v8, v24, v8
	v_sub_f32_e32 v44, v25, v9
	;; [unrolled: 1-line block ×6, first 2 shown]
	v_add_f32_e32 v46, v44, v28
	v_sub_f32_e32 v47, v32, v8
	v_fma_f32 v9, v28, 2.0, -v46
	v_fma_f32 v31, v32, 2.0, -v47
	v_add_f32_e32 v49, v30, v33
	v_sub_f32_e32 v48, v29, v45
	v_fma_f32 v50, v33, 2.0, -v49
	v_fma_f32 v51, v29, 2.0, -v48
	v_mov_b32_e32 v10, v9
	v_mov_b32_e32 v11, v31
	v_fmac_f32_e32 v10, 0xbf3504f3, v50
	v_fmac_f32_e32 v11, 0xbf3504f3, v51
	;; [unrolled: 1-line block ×4, first 2 shown]
	s_barrier
	s_and_saveexec_b64 s[2:3], vcc
	s_cbranch_execz .LBB0_17
; %bb.16:
	v_fma_f32 v21, v21, 2.0, -v32
	v_fma_f32 v32, v22, 2.0, -v33
	;; [unrolled: 1-line block ×3, first 2 shown]
	v_mov_b32_e32 v50, v46
	v_sub_f32_e32 v26, v32, v22
	v_fma_f32 v20, v20, 2.0, -v28
	v_fma_f32 v8, v24, 2.0, -v8
	;; [unrolled: 1-line block ×4, first 2 shown]
	v_mov_b32_e32 v51, v47
	v_fmac_f32_e32 v50, 0x3f3504f3, v49
	v_fma_f32 v25, v25, 2.0, -v44
	v_sub_f32_e32 v8, v20, v8
	v_sub_f32_e32 v27, v24, v22
	v_fmac_f32_e32 v51, 0x3f3504f3, v48
	v_fmac_f32_e32 v50, 0x3f3504f3, v48
	v_sub_f32_e32 v25, v21, v25
	v_add_f32_e32 v48, v27, v8
	v_fma_f32 v44, v8, 2.0, -v48
	v_fma_f32 v22, v9, 2.0, -v10
	;; [unrolled: 1-line block ×6, first 2 shown]
	v_sub_f32_e32 v9, v21, v9
	v_sub_f32_e32 v8, v20, v8
	v_fmac_f32_e32 v51, 0xbf3504f3, v49
	v_sub_f32_e32 v49, v25, v26
	v_fma_f32 v23, v31, 2.0, -v11
	v_fma_f32 v21, v21, 2.0, -v9
	;; [unrolled: 1-line block ×3, first 2 shown]
	v_add_lshl_u32 v24, v40, v42, 3
	v_fma_f32 v47, v47, 2.0, -v51
	v_fma_f32 v46, v46, 2.0, -v50
	;; [unrolled: 1-line block ×3, first 2 shown]
	ds_write_b128 v24, v[20:23]
	ds_write_b128 v24, v[44:47] offset:16
	ds_write_b128 v24, v[8:11] offset:32
	;; [unrolled: 1-line block ×3, first 2 shown]
.LBB0_17:
	s_or_b64 exec, exec, s[2:3]
	s_waitcnt lgkmcnt(0)
	s_barrier
	ds_read2_b64 v[20:23], v41 offset1:48
	ds_read2_b64 v[24:27], v41 offset0:96 offset1:144
	ds_read_b64 v[8:9], v41 offset:1536
	s_waitcnt lgkmcnt(0)
	s_barrier
	v_mul_f32_e32 v28, v5, v23
	v_mul_f32_e32 v5, v5, v22
	v_fmac_f32_e32 v28, v4, v22
	v_fma_f32 v22, v4, v23, -v5
	v_mul_f32_e32 v5, v7, v25
	v_mul_f32_e32 v4, v7, v24
	;; [unrolled: 1-line block ×3, first 2 shown]
	v_fmac_f32_e32 v5, v6, v24
	v_fmac_f32_e32 v7, v0, v26
	v_mul_f32_e32 v1, v1, v26
	v_fma_f32 v23, v6, v25, -v4
	v_fma_f32 v24, v0, v27, -v1
	v_mul_f32_e32 v25, v3, v9
	v_mul_f32_e32 v0, v3, v8
	v_add_f32_e32 v1, v5, v7
	v_fmac_f32_e32 v25, v2, v8
	v_fma_f32 v26, v2, v9, -v0
	v_fma_f32 v8, -0.5, v1, v20
	v_sub_f32_e32 v1, v22, v26
	v_mov_b32_e32 v2, v8
	v_fmac_f32_e32 v2, 0xbf737871, v1
	v_sub_f32_e32 v3, v23, v24
	v_sub_f32_e32 v4, v28, v5
	;; [unrolled: 1-line block ×3, first 2 shown]
	v_fmac_f32_e32 v8, 0x3f737871, v1
	v_fmac_f32_e32 v2, 0xbf167918, v3
	v_add_f32_e32 v4, v4, v6
	v_fmac_f32_e32 v8, 0x3f167918, v3
	v_fmac_f32_e32 v2, 0x3e9e377a, v4
	;; [unrolled: 1-line block ×3, first 2 shown]
	v_add_f32_e32 v4, v28, v25
	v_fma_f32 v6, -0.5, v4, v20
	v_mov_b32_e32 v4, v6
	v_add_f32_e32 v0, v20, v28
	v_fmac_f32_e32 v4, 0x3f737871, v3
	v_sub_f32_e32 v9, v5, v28
	v_sub_f32_e32 v20, v7, v25
	v_fmac_f32_e32 v6, 0xbf737871, v3
	v_fmac_f32_e32 v4, 0xbf167918, v1
	v_add_f32_e32 v9, v9, v20
	v_fmac_f32_e32 v6, 0x3f167918, v1
	v_add_f32_e32 v3, v23, v24
	v_add_f32_e32 v0, v0, v5
	v_fmac_f32_e32 v4, 0x3e9e377a, v9
	v_fmac_f32_e32 v6, 0x3e9e377a, v9
	v_fma_f32 v9, -0.5, v3, v21
	v_add_f32_e32 v0, v0, v7
	v_sub_f32_e32 v20, v28, v25
	v_mov_b32_e32 v3, v9
	v_add_f32_e32 v0, v0, v25
	v_fmac_f32_e32 v3, 0x3f737871, v20
	v_sub_f32_e32 v25, v5, v7
	v_sub_f32_e32 v5, v22, v23
	;; [unrolled: 1-line block ×3, first 2 shown]
	v_fmac_f32_e32 v9, 0xbf737871, v20
	v_fmac_f32_e32 v3, 0x3f167918, v25
	v_add_f32_e32 v5, v5, v7
	v_fmac_f32_e32 v9, 0xbf167918, v25
	v_fmac_f32_e32 v3, 0x3e9e377a, v5
	;; [unrolled: 1-line block ×3, first 2 shown]
	v_add_f32_e32 v5, v22, v26
	v_fma_f32 v7, -0.5, v5, v21
	v_add_f32_e32 v1, v21, v22
	v_mov_b32_e32 v5, v7
	v_add_f32_e32 v1, v1, v23
	v_fmac_f32_e32 v5, 0xbf737871, v25
	v_sub_f32_e32 v21, v23, v22
	v_sub_f32_e32 v22, v24, v26
	v_fmac_f32_e32 v7, 0x3f737871, v25
	v_add_f32_e32 v1, v1, v24
	v_fmac_f32_e32 v5, 0x3f167918, v20
	v_add_f32_e32 v21, v21, v22
	;; [unrolled: 2-line block ×3, first 2 shown]
	v_fmac_f32_e32 v5, 0x3e9e377a, v21
	v_fmac_f32_e32 v7, 0x3e9e377a, v21
	ds_write2_b64 v43, v[0:1], v[2:3] offset1:8
	ds_write2_b64 v43, v[4:5], v[6:7] offset0:16 offset1:24
	ds_write_b64 v43, v[8:9] offset:256
	s_waitcnt lgkmcnt(0)
	s_barrier
	s_and_saveexec_b64 s[2:3], s[0:1]
	s_cbranch_execz .LBB0_19
; %bb.18:
	ds_read2_b64 v[0:3], v41 offset1:40
	ds_read2_b64 v[4:7], v41 offset0:80 offset1:120
	ds_read2_b64 v[8:11], v41 offset0:160 offset1:200
.LBB0_19:
	s_or_b64 exec, exec, s[2:3]
	s_and_saveexec_b64 s[2:3], s[0:1]
	s_cbranch_execz .LBB0_21
; %bb.20:
	s_waitcnt lgkmcnt(1)
	v_mul_f32_e32 v20, v15, v4
	v_fma_f32 v20, v14, v5, -v20
	v_mul_f32_e32 v5, v15, v5
	v_mul_f32_e32 v15, v17, v7
	s_waitcnt lgkmcnt(0)
	v_mul_f32_e32 v21, v19, v8
	v_fmac_f32_e32 v15, v16, v6
	v_mul_f32_e32 v6, v17, v6
	v_fma_f32 v21, v18, v9, -v21
	v_fmac_f32_e32 v5, v14, v4
	v_mul_f32_e32 v9, v19, v9
	v_mul_f32_e32 v14, v13, v3
	v_fma_f32 v6, v16, v7, -v6
	v_mul_f32_e32 v7, v36, v10
	v_fmac_f32_e32 v9, v18, v8
	v_fmac_f32_e32 v14, v12, v2
	v_mul_f32_e32 v18, v36, v11
	v_fma_f32 v7, v35, v11, -v7
	v_mul_f32_e32 v2, v13, v2
	v_fmac_f32_e32 v18, v35, v10
	v_fma_f32 v3, v12, v3, -v2
	v_add_f32_e32 v2, v7, v6
	v_add_f32_e32 v22, v21, v20
	;; [unrolled: 1-line block ×3, first 2 shown]
	v_fma_f32 v12, -0.5, v2, v3
	v_fma_f32 v22, -0.5, v22, v1
	;; [unrolled: 1-line block ×3, first 2 shown]
	v_sub_f32_e32 v13, v15, v18
	v_mov_b32_e32 v16, v12
	v_add_f32_e32 v1, v20, v1
	v_sub_f32_e32 v10, v6, v7
	v_mov_b32_e32 v11, v19
	v_fmac_f32_e32 v16, 0xbf5db3d7, v13
	v_fmac_f32_e32 v12, 0x3f5db3d7, v13
	v_add_f32_e32 v13, v21, v1
	v_add_f32_e32 v1, v6, v3
	v_fmac_f32_e32 v11, 0x3f5db3d7, v10
	v_mul_f32_e32 v17, -0.5, v16
	v_add_f32_e32 v7, v7, v1
	v_add_f32_e32 v1, v9, v5
	v_mul_f32_e32 v16, 0xbf5db3d7, v16
	v_sub_f32_e32 v4, v5, v9
	v_fmac_f32_e32 v17, 0x3f5db3d7, v11
	v_fmac_f32_e32 v19, 0xbf5db3d7, v10
	v_mul_f32_e32 v10, 0.5, v12
	v_fma_f32 v23, -0.5, v1, v0
	v_sub_f32_e32 v3, v20, v21
	v_fmac_f32_e32 v16, -0.5, v11
	v_mul_f32_e32 v11, 0xbf5db3d7, v12
	v_add_f32_e32 v0, v5, v0
	v_add_f32_e32 v5, v15, v14
	v_mov_b32_e32 v8, v22
	v_fmac_f32_e32 v22, 0x3f5db3d7, v4
	v_fmac_f32_e32 v10, 0x3f5db3d7, v19
	v_mov_b32_e32 v20, v23
	v_fmac_f32_e32 v23, 0xbf5db3d7, v3
	v_fmac_f32_e32 v11, 0.5, v19
	v_add_f32_e32 v0, v9, v0
	v_add_f32_e32 v14, v18, v5
	v_fmac_f32_e32 v8, 0xbf5db3d7, v4
	v_sub_f32_e32 v4, v22, v10
	v_fmac_f32_e32 v20, 0x3f5db3d7, v3
	v_sub_f32_e32 v3, v23, v11
	v_sub_f32_e32 v5, v0, v14
	v_add_f32_e32 v10, v22, v10
	v_add_f32_e32 v12, v13, v7
	;; [unrolled: 1-line block ×4, first 2 shown]
	v_lshl_add_u32 v0, v40, 3, v38
	v_sub_f32_e32 v2, v8, v17
	v_sub_f32_e32 v6, v13, v7
	;; [unrolled: 1-line block ×3, first 2 shown]
	v_add_f32_e32 v8, v8, v17
	v_add_f32_e32 v7, v20, v16
	ds_write2_b64 v0, v[11:12], v[9:10] offset1:40
	ds_write2_b64 v0, v[7:8], v[5:6] offset0:80 offset1:120
	ds_write2_b64 v0, v[3:4], v[1:2] offset0:160 offset1:200
.LBB0_21:
	s_or_b64 exec, exec, s[2:3]
	s_waitcnt lgkmcnt(0)
	s_barrier
	s_and_b64 exec, exec, vcc
	s_cbranch_execz .LBB0_23
; %bb.22:
	global_load_dwordx2 v[8:9], v38, s[10:11]
	global_load_dwordx2 v[10:11], v38, s[10:11] offset:240
	global_load_dwordx2 v[12:13], v38, s[10:11] offset:480
	;; [unrolled: 1-line block ×7, first 2 shown]
	v_mad_u64_u32 v[18:19], s[0:1], s6, v34, 0
	v_mad_u64_u32 v[20:21], s[2:3], s4, v37, 0
	s_mul_i32 s3, s5, 0xf0
	s_mul_hi_u32 s6, s4, 0xf0
	s_add_i32 s3, s6, s3
	v_mad_u64_u32 v[32:33], s[6:7], s7, v34, v[19:20]
	s_mul_i32 s2, s4, 0xf0
	v_mov_b32_e32 v35, s9
	v_mov_b32_e32 v19, v32
	v_lshlrev_b64 v[18:19], 3, v[18:19]
	v_lshl_add_u32 v28, v37, 3, v39
	v_add_co_u32_e32 v18, vcc, s8, v18
	v_addc_co_u32_e32 v19, vcc, v35, v19, vcc
	v_add_u32_e32 v36, v39, v38
	ds_read2_b64 v[0:3], v36 offset0:30 offset1:60
	ds_read2_b64 v[4:7], v36 offset0:90 offset1:120
	ds_read_b64 v[28:29], v28
	ds_read_b64 v[30:31], v36 offset:1680
	v_mov_b32_e32 v38, s3
	s_mov_b32 s0, 0x11111111
	s_mov_b32 s1, 0x3f711111
	s_waitcnt vmcnt(6) lgkmcnt(3)
	v_mul_f32_e32 v35, v1, v11
	v_mul_f32_e32 v11, v0, v11
	s_waitcnt vmcnt(2)
	v_mad_u64_u32 v[33:34], s[4:5], s5, v37, v[21:22]
	v_mov_b32_e32 v34, s3
	s_waitcnt lgkmcnt(2)
	v_mul_f32_e32 v39, v5, v15
	v_mov_b32_e32 v21, v33
	v_lshlrev_b64 v[20:21], 3, v[20:21]
	v_mul_f32_e32 v15, v4, v15
	v_add_co_u32_e32 v18, vcc, v18, v20
	v_addc_co_u32_e32 v19, vcc, v19, v21, vcc
	v_add_co_u32_e32 v20, vcc, s2, v18
	v_addc_co_u32_e32 v21, vcc, v19, v38, vcc
	;; [unrolled: 2-line block ×3, first 2 shown]
	s_waitcnt lgkmcnt(1)
	v_mul_f32_e32 v34, v29, v9
	v_mul_f32_e32 v9, v28, v9
	;; [unrolled: 1-line block ×4, first 2 shown]
	v_fmac_f32_e32 v34, v28, v8
	v_fma_f32 v8, v8, v29, -v9
	v_fmac_f32_e32 v35, v0, v10
	v_fma_f32 v9, v10, v1, -v11
	;; [unrolled: 2-line block ×3, first 2 shown]
	v_cvt_f64_f32_e32 v[0:1], v34
	v_cvt_f64_f32_e32 v[2:3], v8
	v_fmac_f32_e32 v39, v4, v14
	v_fma_f32 v28, v14, v5, -v15
	v_cvt_f64_f32_e32 v[4:5], v35
	v_cvt_f64_f32_e32 v[8:9], v9
	v_cvt_f64_f32_e32 v[10:11], v38
	v_cvt_f64_f32_e32 v[12:13], v12
	v_mul_f64 v[0:1], v[0:1], s[0:1]
	v_mul_f64 v[2:3], v[2:3], s[0:1]
	;; [unrolled: 1-line block ×6, first 2 shown]
	v_cvt_f64_f32_e32 v[14:15], v39
	v_cvt_f64_f32_e32 v[28:29], v28
	v_cvt_f32_f64_e32 v0, v[0:1]
	v_cvt_f32_f64_e32 v1, v[2:3]
	v_mul_f64 v[14:15], v[14:15], s[0:1]
	v_mul_f64 v[28:29], v[28:29], s[0:1]
	v_cvt_f32_f64_e32 v2, v[4:5]
	v_cvt_f32_f64_e32 v3, v[8:9]
	;; [unrolled: 1-line block ×4, first 2 shown]
	global_store_dwordx2 v[18:19], v[0:1], off
	global_store_dwordx2 v[20:21], v[2:3], off
	;; [unrolled: 1-line block ×3, first 2 shown]
	v_mul_f32_e32 v0, v6, v17
	v_mul_f32_e32 v40, v7, v17
	v_fma_f32 v0, v16, v7, -v0
	v_fmac_f32_e32 v40, v6, v16
	v_cvt_f64_f32_e32 v[6:7], v0
	ds_read2_b64 v[0:3], v36 offset0:150 offset1:180
	v_cvt_f32_f64_e32 v8, v[14:15]
	v_cvt_f32_f64_e32 v9, v[28:29]
	v_mov_b32_e32 v37, s3
	v_add_co_u32_e32 v10, vcc, s2, v32
	v_cvt_f64_f32_e32 v[4:5], v40
	v_addc_co_u32_e32 v11, vcc, v33, v37, vcc
	global_store_dwordx2 v[10:11], v[8:9], off
	s_waitcnt lgkmcnt(0)
	v_mul_f32_e32 v8, v1, v23
	v_fmac_f32_e32 v8, v0, v22
	v_mul_f32_e32 v0, v0, v23
	v_fma_f32 v0, v22, v1, -v0
	v_mul_f64 v[4:5], v[4:5], s[0:1]
	v_mul_f64 v[6:7], v[6:7], s[0:1]
	v_cvt_f64_f32_e32 v[0:1], v0
	v_cvt_f64_f32_e32 v[8:9], v8
	v_mul_f64 v[0:1], v[0:1], s[0:1]
	v_cvt_f32_f64_e32 v4, v[4:5]
	v_cvt_f32_f64_e32 v5, v[6:7]
	v_mul_f64 v[6:7], v[8:9], s[0:1]
	v_mov_b32_e32 v9, s3
	v_add_co_u32_e32 v8, vcc, s2, v10
	v_addc_co_u32_e32 v9, vcc, v11, v9, vcc
	global_store_dwordx2 v[8:9], v[4:5], off
	v_cvt_f32_f64_e32 v5, v[0:1]
	s_waitcnt vmcnt(6)
	v_mul_f32_e32 v0, v3, v25
	v_fmac_f32_e32 v0, v2, v24
	v_mul_f32_e32 v2, v2, v25
	v_fma_f32 v2, v24, v3, -v2
	v_cvt_f64_f32_e32 v[0:1], v0
	v_cvt_f64_f32_e32 v[2:3], v2
	v_cvt_f32_f64_e32 v4, v[6:7]
	v_mov_b32_e32 v7, s3
	v_add_co_u32_e32 v6, vcc, s2, v8
	v_mul_f64 v[0:1], v[0:1], s[0:1]
	v_mul_f64 v[2:3], v[2:3], s[0:1]
	v_addc_co_u32_e32 v7, vcc, v9, v7, vcc
	global_store_dwordx2 v[6:7], v[4:5], off
	s_waitcnt vmcnt(6)
	v_mul_f32_e32 v4, v31, v27
	v_mul_f32_e32 v8, v30, v27
	v_fmac_f32_e32 v4, v30, v26
	v_fma_f32 v8, v26, v31, -v8
	v_cvt_f64_f32_e32 v[4:5], v4
	v_cvt_f64_f32_e32 v[8:9], v8
	v_cvt_f32_f64_e32 v0, v[0:1]
	v_cvt_f32_f64_e32 v1, v[2:3]
	v_mul_f64 v[2:3], v[4:5], s[0:1]
	v_mul_f64 v[4:5], v[8:9], s[0:1]
	v_mov_b32_e32 v8, s3
	v_add_co_u32_e32 v6, vcc, s2, v6
	v_addc_co_u32_e32 v7, vcc, v7, v8, vcc
	global_store_dwordx2 v[6:7], v[0:1], off
	v_cvt_f32_f64_e32 v0, v[2:3]
	v_cvt_f32_f64_e32 v1, v[4:5]
	v_mov_b32_e32 v3, s3
	v_add_co_u32_e32 v2, vcc, s2, v6
	v_addc_co_u32_e32 v3, vcc, v7, v3, vcc
	global_store_dwordx2 v[2:3], v[0:1], off
.LBB0_23:
	s_endpgm
	.section	.rodata,"a",@progbits
	.p2align	6, 0x0
	.amdhsa_kernel bluestein_single_back_len240_dim1_sp_op_CI_CI
		.amdhsa_group_segment_fixed_size 3840
		.amdhsa_private_segment_fixed_size 0
		.amdhsa_kernarg_size 104
		.amdhsa_user_sgpr_count 6
		.amdhsa_user_sgpr_private_segment_buffer 1
		.amdhsa_user_sgpr_dispatch_ptr 0
		.amdhsa_user_sgpr_queue_ptr 0
		.amdhsa_user_sgpr_kernarg_segment_ptr 1
		.amdhsa_user_sgpr_dispatch_id 0
		.amdhsa_user_sgpr_flat_scratch_init 0
		.amdhsa_user_sgpr_private_segment_size 0
		.amdhsa_uses_dynamic_stack 0
		.amdhsa_system_sgpr_private_segment_wavefront_offset 0
		.amdhsa_system_sgpr_workgroup_id_x 1
		.amdhsa_system_sgpr_workgroup_id_y 0
		.amdhsa_system_sgpr_workgroup_id_z 0
		.amdhsa_system_sgpr_workgroup_info 0
		.amdhsa_system_vgpr_workitem_id 0
		.amdhsa_next_free_vgpr 52
		.amdhsa_next_free_sgpr 16
		.amdhsa_reserve_vcc 1
		.amdhsa_reserve_flat_scratch 0
		.amdhsa_float_round_mode_32 0
		.amdhsa_float_round_mode_16_64 0
		.amdhsa_float_denorm_mode_32 3
		.amdhsa_float_denorm_mode_16_64 3
		.amdhsa_dx10_clamp 1
		.amdhsa_ieee_mode 1
		.amdhsa_fp16_overflow 0
		.amdhsa_exception_fp_ieee_invalid_op 0
		.amdhsa_exception_fp_denorm_src 0
		.amdhsa_exception_fp_ieee_div_zero 0
		.amdhsa_exception_fp_ieee_overflow 0
		.amdhsa_exception_fp_ieee_underflow 0
		.amdhsa_exception_fp_ieee_inexact 0
		.amdhsa_exception_int_div_zero 0
	.end_amdhsa_kernel
	.text
.Lfunc_end0:
	.size	bluestein_single_back_len240_dim1_sp_op_CI_CI, .Lfunc_end0-bluestein_single_back_len240_dim1_sp_op_CI_CI
                                        ; -- End function
	.section	.AMDGPU.csdata,"",@progbits
; Kernel info:
; codeLenInByte = 5032
; NumSgprs: 20
; NumVgprs: 52
; ScratchSize: 0
; MemoryBound: 0
; FloatMode: 240
; IeeeMode: 1
; LDSByteSize: 3840 bytes/workgroup (compile time only)
; SGPRBlocks: 2
; VGPRBlocks: 12
; NumSGPRsForWavesPerEU: 20
; NumVGPRsForWavesPerEU: 52
; Occupancy: 4
; WaveLimiterHint : 1
; COMPUTE_PGM_RSRC2:SCRATCH_EN: 0
; COMPUTE_PGM_RSRC2:USER_SGPR: 6
; COMPUTE_PGM_RSRC2:TRAP_HANDLER: 0
; COMPUTE_PGM_RSRC2:TGID_X_EN: 1
; COMPUTE_PGM_RSRC2:TGID_Y_EN: 0
; COMPUTE_PGM_RSRC2:TGID_Z_EN: 0
; COMPUTE_PGM_RSRC2:TIDIG_COMP_CNT: 0
	.type	__hip_cuid_d4246b7469ec4cc3,@object ; @__hip_cuid_d4246b7469ec4cc3
	.section	.bss,"aw",@nobits
	.globl	__hip_cuid_d4246b7469ec4cc3
__hip_cuid_d4246b7469ec4cc3:
	.byte	0                               ; 0x0
	.size	__hip_cuid_d4246b7469ec4cc3, 1

	.ident	"AMD clang version 19.0.0git (https://github.com/RadeonOpenCompute/llvm-project roc-6.4.0 25133 c7fe45cf4b819c5991fe208aaa96edf142730f1d)"
	.section	".note.GNU-stack","",@progbits
	.addrsig
	.addrsig_sym __hip_cuid_d4246b7469ec4cc3
	.amdgpu_metadata
---
amdhsa.kernels:
  - .args:
      - .actual_access:  read_only
        .address_space:  global
        .offset:         0
        .size:           8
        .value_kind:     global_buffer
      - .actual_access:  read_only
        .address_space:  global
        .offset:         8
        .size:           8
        .value_kind:     global_buffer
      - .actual_access:  read_only
        .address_space:  global
        .offset:         16
        .size:           8
        .value_kind:     global_buffer
      - .actual_access:  read_only
        .address_space:  global
        .offset:         24
        .size:           8
        .value_kind:     global_buffer
      - .actual_access:  read_only
        .address_space:  global
        .offset:         32
        .size:           8
        .value_kind:     global_buffer
      - .offset:         40
        .size:           8
        .value_kind:     by_value
      - .address_space:  global
        .offset:         48
        .size:           8
        .value_kind:     global_buffer
      - .address_space:  global
        .offset:         56
        .size:           8
        .value_kind:     global_buffer
      - .address_space:  global
        .offset:         64
        .size:           8
        .value_kind:     global_buffer
      - .address_space:  global
        .offset:         72
        .size:           8
        .value_kind:     global_buffer
      - .offset:         80
        .size:           4
        .value_kind:     by_value
      - .address_space:  global
        .offset:         88
        .size:           8
        .value_kind:     global_buffer
      - .address_space:  global
        .offset:         96
        .size:           8
        .value_kind:     global_buffer
    .group_segment_fixed_size: 3840
    .kernarg_segment_align: 8
    .kernarg_segment_size: 104
    .language:       OpenCL C
    .language_version:
      - 2
      - 0
    .max_flat_workgroup_size: 96
    .name:           bluestein_single_back_len240_dim1_sp_op_CI_CI
    .private_segment_fixed_size: 0
    .sgpr_count:     20
    .sgpr_spill_count: 0
    .symbol:         bluestein_single_back_len240_dim1_sp_op_CI_CI.kd
    .uniform_work_group_size: 1
    .uses_dynamic_stack: false
    .vgpr_count:     52
    .vgpr_spill_count: 0
    .wavefront_size: 64
amdhsa.target:   amdgcn-amd-amdhsa--gfx906
amdhsa.version:
  - 1
  - 2
...

	.end_amdgpu_metadata
